;; amdgpu-corpus repo=ROCm/rocFFT kind=compiled arch=gfx906 opt=O3
	.text
	.amdgcn_target "amdgcn-amd-amdhsa--gfx906"
	.amdhsa_code_object_version 6
	.protected	fft_rtc_fwd_len200_factors_10_10_2_wgs_60_tpt_20_halfLds_half_ip_CI_unitstride_sbrr_dirReg ; -- Begin function fft_rtc_fwd_len200_factors_10_10_2_wgs_60_tpt_20_halfLds_half_ip_CI_unitstride_sbrr_dirReg
	.globl	fft_rtc_fwd_len200_factors_10_10_2_wgs_60_tpt_20_halfLds_half_ip_CI_unitstride_sbrr_dirReg
	.p2align	8
	.type	fft_rtc_fwd_len200_factors_10_10_2_wgs_60_tpt_20_halfLds_half_ip_CI_unitstride_sbrr_dirReg,@function
fft_rtc_fwd_len200_factors_10_10_2_wgs_60_tpt_20_halfLds_half_ip_CI_unitstride_sbrr_dirReg: ; @fft_rtc_fwd_len200_factors_10_10_2_wgs_60_tpt_20_halfLds_half_ip_CI_unitstride_sbrr_dirReg
; %bb.0:
	v_mul_u32_u24_e32 v1, 0xccd, v0
	s_load_dwordx2 s[2:3], s[4:5], 0x50
	s_load_dwordx4 s[8:11], s[4:5], 0x0
	s_load_dwordx2 s[12:13], s[4:5], 0x18
	v_lshrrev_b32_e32 v1, 16, v1
	v_mad_u64_u32 v[6:7], s[0:1], s6, 3, v[1:2]
	v_mov_b32_e32 v3, 0
	s_waitcnt lgkmcnt(0)
	v_cmp_lt_u64_e64 s[0:1], s[10:11], 2
	v_mov_b32_e32 v7, v3
	v_mov_b32_e32 v1, 0
	;; [unrolled: 1-line block ×3, first 2 shown]
	s_and_b64 vcc, exec, s[0:1]
	v_mov_b32_e32 v2, 0
	v_mov_b32_e32 v5, v7
	s_cbranch_vccnz .LBB0_8
; %bb.1:
	s_load_dwordx2 s[0:1], s[4:5], 0x10
	s_add_u32 s6, s12, 8
	s_addc_u32 s7, s13, 0
	v_mov_b32_e32 v1, 0
	v_mov_b32_e32 v8, v7
	s_waitcnt lgkmcnt(0)
	s_add_u32 s16, s0, 8
	s_mov_b64 s[14:15], 1
	v_mov_b32_e32 v2, 0
	s_addc_u32 s17, s1, 0
	v_mov_b32_e32 v7, v6
.LBB0_2:                                ; =>This Inner Loop Header: Depth=1
	s_load_dwordx2 s[18:19], s[16:17], 0x0
	s_waitcnt lgkmcnt(0)
	v_or_b32_e32 v4, s19, v8
	v_cmp_ne_u64_e32 vcc, 0, v[3:4]
                                        ; implicit-def: $vgpr4_vgpr5
	s_and_saveexec_b64 s[0:1], vcc
	s_xor_b64 s[20:21], exec, s[0:1]
	s_cbranch_execz .LBB0_4
; %bb.3:                                ;   in Loop: Header=BB0_2 Depth=1
	v_cvt_f32_u32_e32 v4, s18
	v_cvt_f32_u32_e32 v5, s19
	s_sub_u32 s0, 0, s18
	s_subb_u32 s1, 0, s19
	v_mac_f32_e32 v4, 0x4f800000, v5
	v_rcp_f32_e32 v4, v4
	v_mul_f32_e32 v4, 0x5f7ffffc, v4
	v_mul_f32_e32 v5, 0x2f800000, v4
	v_trunc_f32_e32 v5, v5
	v_mac_f32_e32 v4, 0xcf800000, v5
	v_cvt_u32_f32_e32 v5, v5
	v_cvt_u32_f32_e32 v4, v4
	v_mul_lo_u32 v9, s0, v5
	v_mul_hi_u32 v10, s0, v4
	v_mul_lo_u32 v12, s1, v4
	v_mul_lo_u32 v11, s0, v4
	v_add_u32_e32 v9, v10, v9
	v_add_u32_e32 v9, v9, v12
	v_mul_hi_u32 v10, v4, v11
	v_mul_lo_u32 v12, v4, v9
	v_mul_hi_u32 v14, v4, v9
	v_mul_hi_u32 v13, v5, v11
	v_mul_lo_u32 v11, v5, v11
	v_mul_hi_u32 v15, v5, v9
	v_add_co_u32_e32 v10, vcc, v10, v12
	v_addc_co_u32_e32 v12, vcc, 0, v14, vcc
	v_mul_lo_u32 v9, v5, v9
	v_add_co_u32_e32 v10, vcc, v10, v11
	v_addc_co_u32_e32 v10, vcc, v12, v13, vcc
	v_addc_co_u32_e32 v11, vcc, 0, v15, vcc
	v_add_co_u32_e32 v9, vcc, v10, v9
	v_addc_co_u32_e32 v10, vcc, 0, v11, vcc
	v_add_co_u32_e32 v4, vcc, v4, v9
	v_addc_co_u32_e32 v5, vcc, v5, v10, vcc
	v_mul_lo_u32 v9, s0, v5
	v_mul_hi_u32 v10, s0, v4
	v_mul_lo_u32 v11, s1, v4
	v_mul_lo_u32 v12, s0, v4
	v_add_u32_e32 v9, v10, v9
	v_add_u32_e32 v9, v9, v11
	v_mul_lo_u32 v13, v4, v9
	v_mul_hi_u32 v14, v4, v12
	v_mul_hi_u32 v15, v4, v9
	;; [unrolled: 1-line block ×3, first 2 shown]
	v_mul_lo_u32 v12, v5, v12
	v_mul_hi_u32 v10, v5, v9
	v_add_co_u32_e32 v13, vcc, v14, v13
	v_addc_co_u32_e32 v14, vcc, 0, v15, vcc
	v_mul_lo_u32 v9, v5, v9
	v_add_co_u32_e32 v12, vcc, v13, v12
	v_addc_co_u32_e32 v11, vcc, v14, v11, vcc
	v_addc_co_u32_e32 v10, vcc, 0, v10, vcc
	v_add_co_u32_e32 v9, vcc, v11, v9
	v_addc_co_u32_e32 v10, vcc, 0, v10, vcc
	v_add_co_u32_e32 v9, vcc, v4, v9
	v_addc_co_u32_e32 v10, vcc, v5, v10, vcc
	v_mad_u64_u32 v[4:5], s[0:1], v7, v10, 0
	v_mul_hi_u32 v11, v7, v9
	v_add_co_u32_e32 v11, vcc, v11, v4
	v_addc_co_u32_e32 v12, vcc, 0, v5, vcc
	v_mad_u64_u32 v[4:5], s[0:1], v8, v9, 0
	v_mad_u64_u32 v[9:10], s[0:1], v8, v10, 0
	v_add_co_u32_e32 v4, vcc, v11, v4
	v_addc_co_u32_e32 v4, vcc, v12, v5, vcc
	v_addc_co_u32_e32 v5, vcc, 0, v10, vcc
	v_add_co_u32_e32 v9, vcc, v4, v9
	v_addc_co_u32_e32 v10, vcc, 0, v5, vcc
	v_mul_lo_u32 v11, s19, v9
	v_mul_lo_u32 v12, s18, v10
	v_mad_u64_u32 v[4:5], s[0:1], s18, v9, 0
	v_add3_u32 v5, v5, v12, v11
	v_sub_u32_e32 v11, v8, v5
	v_mov_b32_e32 v12, s19
	v_sub_co_u32_e32 v4, vcc, v7, v4
	v_subb_co_u32_e64 v11, s[0:1], v11, v12, vcc
	v_subrev_co_u32_e64 v12, s[0:1], s18, v4
	v_subbrev_co_u32_e64 v11, s[0:1], 0, v11, s[0:1]
	v_cmp_le_u32_e64 s[0:1], s19, v11
	v_cndmask_b32_e64 v13, 0, -1, s[0:1]
	v_cmp_le_u32_e64 s[0:1], s18, v12
	v_cndmask_b32_e64 v12, 0, -1, s[0:1]
	v_cmp_eq_u32_e64 s[0:1], s19, v11
	v_cndmask_b32_e64 v11, v13, v12, s[0:1]
	v_add_co_u32_e64 v12, s[0:1], 2, v9
	v_addc_co_u32_e64 v13, s[0:1], 0, v10, s[0:1]
	v_add_co_u32_e64 v14, s[0:1], 1, v9
	v_addc_co_u32_e64 v15, s[0:1], 0, v10, s[0:1]
	v_subb_co_u32_e32 v5, vcc, v8, v5, vcc
	v_cmp_ne_u32_e64 s[0:1], 0, v11
	v_cmp_le_u32_e32 vcc, s19, v5
	v_cndmask_b32_e64 v11, v15, v13, s[0:1]
	v_cndmask_b32_e64 v13, 0, -1, vcc
	v_cmp_le_u32_e32 vcc, s18, v4
	v_cndmask_b32_e64 v4, 0, -1, vcc
	v_cmp_eq_u32_e32 vcc, s19, v5
	v_cndmask_b32_e32 v4, v13, v4, vcc
	v_cmp_ne_u32_e32 vcc, 0, v4
	v_cndmask_b32_e64 v4, v14, v12, s[0:1]
	v_cndmask_b32_e32 v5, v10, v11, vcc
	v_cndmask_b32_e32 v4, v9, v4, vcc
.LBB0_4:                                ;   in Loop: Header=BB0_2 Depth=1
	s_andn2_saveexec_b64 s[0:1], s[20:21]
	s_cbranch_execz .LBB0_6
; %bb.5:                                ;   in Loop: Header=BB0_2 Depth=1
	v_cvt_f32_u32_e32 v4, s18
	s_sub_i32 s20, 0, s18
	v_rcp_iflag_f32_e32 v4, v4
	v_mul_f32_e32 v4, 0x4f7ffffe, v4
	v_cvt_u32_f32_e32 v4, v4
	v_mul_lo_u32 v5, s20, v4
	v_mul_hi_u32 v5, v4, v5
	v_add_u32_e32 v4, v4, v5
	v_mul_hi_u32 v4, v7, v4
	v_mul_lo_u32 v5, v4, s18
	v_add_u32_e32 v9, 1, v4
	v_sub_u32_e32 v5, v7, v5
	v_subrev_u32_e32 v10, s18, v5
	v_cmp_le_u32_e32 vcc, s18, v5
	v_cndmask_b32_e32 v5, v5, v10, vcc
	v_cndmask_b32_e32 v4, v4, v9, vcc
	v_add_u32_e32 v9, 1, v4
	v_cmp_le_u32_e32 vcc, s18, v5
	v_cndmask_b32_e32 v4, v4, v9, vcc
	v_mov_b32_e32 v5, v3
.LBB0_6:                                ;   in Loop: Header=BB0_2 Depth=1
	s_or_b64 exec, exec, s[0:1]
	v_mul_lo_u32 v11, v5, s18
	v_mul_lo_u32 v12, v4, s19
	v_mad_u64_u32 v[9:10], s[0:1], v4, s18, 0
	s_load_dwordx2 s[0:1], s[6:7], 0x0
	s_add_u32 s14, s14, 1
	v_add3_u32 v10, v10, v12, v11
	v_sub_co_u32_e32 v7, vcc, v7, v9
	v_subb_co_u32_e32 v8, vcc, v8, v10, vcc
	s_waitcnt lgkmcnt(0)
	v_mul_lo_u32 v8, s0, v8
	v_mul_lo_u32 v9, s1, v7
	v_mad_u64_u32 v[1:2], s[0:1], s0, v7, v[1:2]
	s_addc_u32 s15, s15, 0
	s_add_u32 s6, s6, 8
	v_add3_u32 v2, v9, v2, v8
	v_mov_b32_e32 v7, s10
	v_mov_b32_e32 v8, s11
	s_addc_u32 s7, s7, 0
	v_cmp_ge_u64_e32 vcc, s[14:15], v[7:8]
	s_add_u32 s16, s16, 8
	s_addc_u32 s17, s17, 0
	s_cbranch_vccnz .LBB0_8
; %bb.7:                                ;   in Loop: Header=BB0_2 Depth=1
	v_mov_b32_e32 v8, v5
	v_mov_b32_e32 v7, v4
	s_branch .LBB0_2
.LBB0_8:
	s_lshl_b64 s[0:1], s[10:11], 3
	s_add_u32 s0, s12, s0
	s_addc_u32 s1, s13, s1
	s_load_dwordx2 s[6:7], s[0:1], 0x0
	s_load_dwordx2 s[10:11], s[4:5], 0x20
                                        ; implicit-def: $vgpr11
                                        ; implicit-def: $vgpr20
                                        ; implicit-def: $vgpr12
                                        ; implicit-def: $vgpr14
                                        ; implicit-def: $vgpr16
                                        ; implicit-def: $vgpr15
                                        ; implicit-def: $vgpr17
                                        ; implicit-def: $vgpr18
                                        ; implicit-def: $vgpr19
                                        ; implicit-def: $vgpr9
                                        ; implicit-def: $vgpr10
                                        ; implicit-def: $vgpr13
                                        ; implicit-def: $vgpr21
	s_waitcnt lgkmcnt(0)
	v_mad_u64_u32 v[1:2], s[0:1], s6, v4, v[1:2]
	v_mul_lo_u32 v3, s6, v5
	v_mul_lo_u32 v7, s7, v4
	s_mov_b32 s0, 0xccccccd
	v_mul_hi_u32 v8, v0, s0
	v_cmp_gt_u64_e32 vcc, s[10:11], v[4:5]
	v_add3_u32 v2, v7, v2, v3
	v_lshlrev_b64 v[2:3], 2, v[1:2]
	v_mul_u32_u24_e32 v4, 20, v8
	v_sub_u32_e32 v0, v0, v4
                                        ; implicit-def: $vgpr7
                                        ; implicit-def: $vgpr8
	s_and_saveexec_b64 s[4:5], vcc
	s_cbranch_execz .LBB0_10
; %bb.9:
	v_mov_b32_e32 v1, 0
	v_mov_b32_e32 v4, s3
	v_add_co_u32_e64 v7, s[0:1], s2, v2
	v_addc_co_u32_e64 v8, s[0:1], v4, v3, s[0:1]
	v_lshlrev_b64 v[4:5], 2, v[0:1]
	v_add_co_u32_e64 v4, s[0:1], v7, v4
	v_addc_co_u32_e64 v5, s[0:1], v8, v5, s[0:1]
	global_load_dword v20, v[4:5], off
	global_load_dword v7, v[4:5], off offset:160
	global_load_dword v8, v[4:5], off offset:560
	;; [unrolled: 1-line block ×9, first 2 shown]
	s_waitcnt vmcnt(9)
	v_lshrrev_b32_e32 v11, 16, v20
	s_waitcnt vmcnt(8)
	v_lshrrev_b32_e32 v12, 16, v7
	;; [unrolled: 2-line block ×5, first 2 shown]
.LBB0_10:
	s_or_b64 exec, exec, s[4:5]
	v_add_u32_e32 v1, -10, v0
	v_cmp_gt_u32_e64 s[0:1], 10, v0
	v_cndmask_b32_e64 v1, v1, v0, s[0:1]
	v_mul_i32_i24_e32 v4, 9, v1
	v_mov_b32_e32 v5, 0
	s_mov_b32 s0, 0xaaaaaaab
	v_lshlrev_b64 v[22:23], 2, v[4:5]
	v_mul_hi_u32 v4, v6, s0
	v_mov_b32_e32 v24, s9
	v_add_co_u32_e64 v22, s[0:1], s8, v22
	v_lshrrev_b32_e32 v4, 1, v4
	v_lshl_add_u32 v4, v4, 1, v4
	v_addc_co_u32_e64 v23, s[0:1], v24, v23, s[0:1]
	v_sub_u32_e32 v4, v6, v4
	v_sub_f16_e32 v6, v7, v16
	v_sub_f16_e32 v24, v19, v17
	v_add_f16_e32 v6, v6, v24
	v_sub_f16_e32 v24, v16, v7
	v_sub_f16_e32 v25, v17, v19
	v_add_f16_e32 v24, v24, v25
	v_add_f16_e32 v25, v7, v19
	s_movk_i32 s6, 0x3b9c
	s_mov_b32 s7, 0xbb9c
	v_fma_f16 v25, v25, -0.5, v20
	v_sub_f16_e32 v27, v14, v15
	s_movk_i32 s4, 0x38b4
	s_mov_b32 s5, 0xb8b4
	v_sub_f16_e32 v26, v12, v18
	v_fma_f16 v28, v27, s7, v25
	v_fma_f16 v25, v27, s6, v25
	s_movk_i32 s10, 0x34f2
	v_fma_f16 v28, v26, s4, v28
	v_fma_f16 v25, v26, s5, v25
	;; [unrolled: 1-line block ×4, first 2 shown]
	v_pk_add_f16 v25, v10, v9 neg_lo:[0,1] neg_hi:[0,1]
	s_waitcnt vmcnt(0)
	v_pk_add_f16 v29, v13, v8 neg_lo:[0,1] neg_hi:[0,1]
	v_pk_add_f16 v25, v25, v29
	v_sub_f16_sdwa v29, v10, v9 dst_sel:DWORD dst_unused:UNUSED_PAD src0_sel:WORD_1 src1_sel:WORD_1
	v_sub_f16_sdwa v30, v13, v8 dst_sel:DWORD dst_unused:UNUSED_PAD src0_sel:WORD_1 src1_sel:WORD_1
	v_add_f16_e32 v29, v29, v30
	v_pk_add_f16 v30, v9, v10 neg_lo:[0,1] neg_hi:[0,1]
	v_pk_add_f16 v31, v8, v13 neg_lo:[0,1] neg_hi:[0,1]
	v_pk_add_f16 v30, v30, v31
	v_pk_add_f16 v31, v10, v13
	v_pk_add_f16 v32, v9, v8 neg_lo:[0,1] neg_hi:[0,1]
	v_pk_fma_f16 v31, v31, -0.5, v21 op_sel_hi:[1,0,1]
	v_pk_mul_f16 v33, v32, s6 op_sel_hi:[1,0]
	v_pk_add_f16 v34, v33, v31 op_sel:[1,0] op_sel_hi:[0,1]
	v_pk_add_f16 v31, v31, v33 op_sel:[0,1] op_sel_hi:[1,0] neg_lo:[0,1] neg_hi:[0,1]
	v_pk_add_f16 v33, v10, v13 neg_lo:[0,1] neg_hi:[0,1]
	v_pk_mul_f16 v35, v33, s4 op_sel_hi:[1,0]
	v_pk_add_f16 v34, v34, v35 op_sel:[0,1] op_sel_hi:[1,0] neg_lo:[0,1] neg_hi:[0,1]
	v_pk_add_f16 v31, v35, v31 op_sel:[1,0] op_sel_hi:[0,1]
	v_pk_fma_f16 v34, v30, s10, v34 op_sel_hi:[1,0,1]
	v_pk_fma_f16 v30, v30, s10, v31 op_sel_hi:[1,0,1]
	v_mul_f16_e32 v31, 0x34f2, v30
	v_lshrrev_b32_e32 v35, 16, v34
	v_fma_f16 v31, v35, s6, v31
	v_mul_f16_e32 v35, 0x34f2, v34
	v_lshrrev_b32_e32 v36, 16, v30
	v_add_f16_e32 v40, v9, v8
	v_fma_f16 v35, v36, s6, -v35
	v_add_f16_e32 v39, v21, v10
	v_fma_f16 v40, v40, -0.5, v21
	v_lshrrev_b32_e32 v21, 16, v21
	v_add_f16_sdwa v43, v9, v8 dst_sel:DWORD dst_unused:UNUSED_PAD src0_sel:WORD_1 src1_sel:WORD_1
	v_add_f16_e32 v36, v28, v31
	v_add_f16_e32 v37, v24, v35
	s_mov_b32 s0, 0xffff
	v_fma_f16 v43, v43, -0.5, v21
	v_pack_b32_f16 v36, v36, v37
	v_add_f16_e32 v37, v16, v17
	v_bfi_b32 v25, s0, v25, v32
	s_mov_b32 s1, 0x38b434f2
	v_lshrrev_b32_e32 v41, 16, v33
	v_fma_f16 v44, v33, s7, v43
	v_fma_f16 v37, v37, -0.5, v20
	v_add_f16_e32 v20, v20, v7
	v_pk_mul_f16 v25, v25, s1
	v_fma_f16 v42, v41, s6, v40
	v_fma_f16 v44, v32, s5, v44
	v_add_f16_e32 v20, v20, v16
	v_fma_f16 v38, v26, s6, v37
	v_add_f16_e32 v39, v39, v9
	v_add_f16_sdwa v42, v25, v42 dst_sel:DWORD dst_unused:UNUSED_PAD src0_sel:WORD_1 src1_sel:DWORD
	v_fma_f16 v44, v29, s10, v44
	v_add_f16_e32 v20, v20, v17
	v_fma_f16 v38, v27, s4, v38
	v_add_f16_e32 v39, v39, v8
	v_add_f16_e32 v42, v25, v42
	s_movk_i32 s11, 0x3a79
	v_mul_f16_e32 v45, 0x38b4, v44
	v_add_f16_e32 v20, v20, v19
	v_fma_f16 v38, v6, s10, v38
	v_add_f16_e32 v39, v39, v13
	v_fma_f16 v45, v42, s11, v45
	v_add_f16_e32 v46, v20, v39
	v_add_f16_e32 v47, v38, v45
	v_mul_u32_u24_e32 v4, 0xc8, v4
	v_pack_b32_f16 v46, v46, v47
	v_lshlrev_b32_e32 v47, 1, v4
	v_mul_u32_u24_e32 v4, 10, v0
	v_add_u32_e32 v48, 0, v47
	v_lshl_add_u32 v49, v4, 1, v48
	v_fma_f16 v4, v26, s7, v37
	v_fma_f16 v4, v27, s5, v4
	v_fma_f16 v4, v6, s10, v4
	v_fma_f16 v6, v41, s7, v40
	v_sub_f16_sdwa v6, v6, v25 dst_sel:DWORD dst_unused:UNUSED_PAD src0_sel:DWORD src1_sel:WORD_1
	v_add_f16_e32 v25, v25, v6
	v_fma_f16 v6, v33, s6, v43
	v_fma_f16 v6, v32, s4, v6
	;; [unrolled: 1-line block ×3, first 2 shown]
	v_sub_f16_e32 v6, v20, v39
	v_sub_f16_e32 v20, v38, v45
	;; [unrolled: 1-line block ×3, first 2 shown]
	v_pack_b32_f16 v20, v20, v27
	v_mul_f16_e32 v27, 0x3a79, v25
	v_fma_f16 v27, v26, s4, -v27
	v_add_f16_e32 v28, v4, v27
	v_pack_b32_f16 v6, v28, v6
	ds_write2_b32 v49, v6, v20 offset0:2 offset1:3
	v_sub_f16_e32 v16, v16, v17
	v_sub_f16_e32 v6, v12, v14
	;; [unrolled: 1-line block ×3, first 2 shown]
	v_add_f16_e32 v17, v6, v17
	v_add_f16_e32 v6, v14, v15
	v_sub_f16_e32 v7, v7, v19
	v_fma_f16 v19, v6, -0.5, v11
	v_add_f16_e32 v6, v12, v18
	v_fma_f16 v6, v6, -0.5, v11
	v_add_f16_e32 v11, v11, v12
	v_add_f16_sdwa v10, v21, v10 dst_sel:DWORD dst_unused:UNUSED_PAD src0_sel:DWORD src1_sel:WORD_1
	v_add_f16_e32 v11, v11, v14
	v_sub_f16_e32 v12, v14, v12
	v_sub_f16_e32 v14, v15, v18
	v_add_f16_sdwa v9, v10, v9 dst_sel:DWORD dst_unused:UNUSED_PAD src0_sel:DWORD src1_sel:WORD_1
	v_fma_f16 v10, v16, s6, v6
	v_fma_f16 v6, v16, s7, v6
	v_add_f16_e32 v12, v12, v14
	v_fma_f16 v10, v7, s5, v10
	v_fma_f16 v6, v7, s4, v6
	v_pack_b32_f16 v6, v6, v10
	v_mul_f16_e32 v10, 0x34f2, v12
	s_mov_b32 s12, 0x34f23b9c
	v_pk_add_f16 v10, v10, v6 op_sel_hi:[0,1]
	s_mov_b32 s1, 0x34f2bb9c
	v_pk_mul_f16 v6, v30, s12
	v_sub_f16_e32 v4, v4, v27
	v_pk_fma_f16 v12, v34, s1, v6 op_sel:[0,0,1] op_sel_hi:[1,1,0] neg_lo:[0,0,1] neg_hi:[0,0,1]
	v_sub_f16_e32 v6, v24, v35
	v_pack_b32_f16 v4, v6, v4
	ds_write_b32 v49, v4 offset:16
	v_fma_f16 v4, v7, s7, v19
	v_add_f16_e32 v11, v11, v15
	v_add_f16_sdwa v8, v9, v8 dst_sel:DWORD dst_unused:UNUSED_PAD src0_sel:DWORD src1_sel:WORD_1
	v_mul_f16_e32 v9, 0xb8b4, v42
	v_fma_f16 v4, v16, s5, v4
	v_add_f16_e32 v11, v11, v18
	v_add_f16_sdwa v8, v8, v13 dst_sel:DWORD dst_unused:UNUSED_PAD src0_sel:DWORD src1_sel:WORD_1
	v_fma_f16 v9, v44, s11, v9
	v_fma_f16 v13, v17, s10, v4
	v_add_f16_e32 v4, v11, v8
	v_add_f16_e32 v6, v13, v9
	v_pk_add_f16 v32, v10, v12
	v_pack_b32_f16 v14, v4, v6
	v_lshl_add_u32 v4, v0, 1, v48
	s_movk_i32 s1, 0xffee
	v_alignbit_b32 v32, v32, v32, 16
	v_fma_f16 v7, v7, s6, v19
	ds_write2_b32 v49, v46, v36 offset1:1
	s_waitcnt lgkmcnt(0)
	; wave barrier
	s_waitcnt lgkmcnt(0)
	v_mad_i32_i24 v6, v0, s1, v49
	ds_read_u16 v15, v4
	ds_read_u16 v18, v6 offset:40
	ds_read_u16 v20, v6 offset:80
	;; [unrolled: 1-line block ×9, first 2 shown]
	s_waitcnt lgkmcnt(0)
	; wave barrier
	s_waitcnt lgkmcnt(0)
	ds_write2_b32 v49, v14, v32 offset1:1
	v_fma_f16 v7, v16, s4, v7
	v_mul_f16_e32 v14, 0x3a79, v26
	v_fma_f16 v7, v17, s10, v7
	v_fma_f16 v14, v25, s5, -v14
	v_sub_f16_e32 v8, v11, v8
	v_bfi_b32 v11, s0, v13, v10
	v_bfi_b32 v9, s0, v9, v12
	v_pk_add_f16 v9, v11, v9 neg_lo:[0,1] neg_hi:[0,1]
	v_add_f16_e32 v11, v7, v14
	v_pack_b32_f16 v8, v11, v8
	ds_write2_b32 v49, v8, v9 offset0:2 offset1:3
	v_sub_f16_e32 v7, v7, v14
	v_sub_f16_e32 v8, v10, v12
	v_pack_b32_f16 v7, v8, v7
	ds_write_b32 v49, v7 offset:16
	s_waitcnt lgkmcnt(0)
	; wave barrier
	s_waitcnt lgkmcnt(0)
	global_load_dwordx4 v[7:10], v[22:23], off
	global_load_dwordx4 v[11:14], v[22:23], off offset:16
	global_load_dword v16, v[22:23], off offset:32
	ds_read_u16 v17, v6 offset:40
	ds_read_u16 v19, v6 offset:80
	;; [unrolled: 1-line block ×7, first 2 shown]
	ds_read_u16 v33, v4
	v_cmp_lt_u32_e64 s[0:1], 9, v0
	v_lshlrev_b32_e32 v1, 1, v1
	s_waitcnt vmcnt(2) lgkmcnt(7)
	v_mul_f16_sdwa v34, v17, v7 dst_sel:DWORD dst_unused:UNUSED_PAD src0_sel:DWORD src1_sel:WORD_1
	v_fma_f16 v34, v18, v7, -v34
	v_mul_f16_sdwa v18, v18, v7 dst_sel:DWORD dst_unused:UNUSED_PAD src0_sel:DWORD src1_sel:WORD_1
	v_fma_f16 v7, v17, v7, v18
	s_waitcnt lgkmcnt(6)
	v_mul_f16_sdwa v17, v19, v8 dst_sel:DWORD dst_unused:UNUSED_PAD src0_sel:DWORD src1_sel:WORD_1
	v_mul_f16_sdwa v18, v20, v8 dst_sel:DWORD dst_unused:UNUSED_PAD src0_sel:DWORD src1_sel:WORD_1
	v_fma_f16 v17, v20, v8, -v17
	v_fma_f16 v8, v19, v8, v18
	s_waitcnt lgkmcnt(5)
	v_mul_f16_sdwa v18, v22, v9 dst_sel:DWORD dst_unused:UNUSED_PAD src0_sel:DWORD src1_sel:WORD_1
	v_mul_f16_sdwa v19, v21, v9 dst_sel:DWORD dst_unused:UNUSED_PAD src0_sel:DWORD src1_sel:WORD_1
	v_fma_f16 v18, v21, v9, -v18
	;; [unrolled: 5-line block ×3, first 2 shown]
	v_fma_f16 v10, v23, v10, v20
	s_waitcnt vmcnt(1) lgkmcnt(3)
	v_mul_f16_sdwa v20, v25, v11 dst_sel:DWORD dst_unused:UNUSED_PAD src0_sel:DWORD src1_sel:WORD_1
	v_mul_f16_sdwa v21, v27, v11 dst_sel:DWORD dst_unused:UNUSED_PAD src0_sel:DWORD src1_sel:WORD_1
	v_fma_f16 v20, v27, v11, -v20
	v_fma_f16 v11, v25, v11, v21
	s_waitcnt lgkmcnt(2)
	v_mul_f16_sdwa v21, v26, v12 dst_sel:DWORD dst_unused:UNUSED_PAD src0_sel:DWORD src1_sel:WORD_1
	v_mul_f16_sdwa v22, v28, v12 dst_sel:DWORD dst_unused:UNUSED_PAD src0_sel:DWORD src1_sel:WORD_1
	v_fma_f16 v21, v28, v12, -v21
	v_fma_f16 v12, v26, v12, v22
	s_waitcnt lgkmcnt(1)
	v_mul_f16_sdwa v22, v32, v13 dst_sel:DWORD dst_unused:UNUSED_PAD src0_sel:DWORD src1_sel:WORD_1
	ds_read_u16 v23, v6 offset:320
	v_mul_f16_sdwa v24, v29, v13 dst_sel:DWORD dst_unused:UNUSED_PAD src0_sel:DWORD src1_sel:WORD_1
	v_fma_f16 v22, v29, v13, -v22
	v_fma_f16 v13, v32, v13, v24
	ds_read_u16 v24, v6 offset:360
	s_waitcnt lgkmcnt(1)
	v_mul_f16_sdwa v25, v23, v14 dst_sel:DWORD dst_unused:UNUSED_PAD src0_sel:DWORD src1_sel:WORD_1
	v_mul_f16_sdwa v26, v30, v14 dst_sel:DWORD dst_unused:UNUSED_PAD src0_sel:DWORD src1_sel:WORD_1
	v_fma_f16 v25, v30, v14, -v25
	v_fma_f16 v14, v23, v14, v26
	s_waitcnt vmcnt(0) lgkmcnt(0)
	v_mul_f16_sdwa v23, v24, v16 dst_sel:DWORD dst_unused:UNUSED_PAD src0_sel:DWORD src1_sel:WORD_1
	v_mul_f16_sdwa v26, v31, v16 dst_sel:DWORD dst_unused:UNUSED_PAD src0_sel:DWORD src1_sel:WORD_1
	v_fma_f16 v23, v31, v16, -v23
	v_fma_f16 v16, v24, v16, v26
	v_mov_b32_e32 v24, 0xc8
	v_cndmask_b32_e64 v24, 0, v24, s[0:1]
	v_add_u32_e32 v24, 0, v24
	v_add3_u32 v1, v24, v1, v47
	v_sub_f16_e32 v24, v17, v19
	v_sub_f16_e32 v26, v25, v21
	v_add_f16_e32 v24, v24, v26
	v_add_f16_e32 v26, v19, v21
	v_fma_f16 v26, v26, -0.5, v15
	v_sub_f16_e32 v27, v8, v14
	v_fma_f16 v28, v27, s6, v26
	v_sub_f16_e32 v29, v10, v12
	v_fma_f16 v26, v27, s7, v26
	v_fma_f16 v28, v29, s4, v28
	;; [unrolled: 1-line block ×5, first 2 shown]
	v_sub_f16_e32 v26, v19, v17
	v_sub_f16_e32 v30, v21, v25
	v_add_f16_e32 v26, v26, v30
	v_add_f16_e32 v30, v17, v25
	v_fma_f16 v30, v30, -0.5, v15
	v_add_f16_e32 v15, v15, v17
	v_add_f16_e32 v15, v15, v19
	;; [unrolled: 1-line block ×4, first 2 shown]
	v_sub_f16_e32 v17, v17, v25
	v_sub_f16_e32 v19, v19, v21
	;; [unrolled: 1-line block ×4, first 2 shown]
	v_fma_f16 v31, v29, s7, v30
	v_fma_f16 v29, v29, s6, v30
	v_add_f16_e32 v21, v21, v25
	v_add_f16_e32 v25, v10, v12
	v_fma_f16 v30, v27, s4, v31
	v_fma_f16 v27, v27, s5, v29
	v_fma_f16 v25, v25, -0.5, v33
	v_fma_f16 v29, v26, s10, v30
	v_fma_f16 v26, v26, s10, v27
	;; [unrolled: 1-line block ×6, first 2 shown]
	v_add_f16_e32 v30, v33, v8
	v_fma_f16 v27, v21, s10, v27
	v_fma_f16 v21, v21, s10, v25
	v_add_f16_e32 v25, v8, v14
	v_add_f16_e32 v30, v30, v10
	v_fma_f16 v25, v25, -0.5, v33
	v_sub_f16_e32 v8, v10, v8
	v_add_f16_e32 v10, v30, v12
	v_sub_f16_e32 v12, v12, v14
	v_add_f16_e32 v10, v10, v14
	v_add_f16_e32 v8, v8, v12
	v_fma_f16 v12, v19, s6, v25
	v_fma_f16 v14, v19, s7, v25
	;; [unrolled: 1-line block ×6, first 2 shown]
	v_sub_f16_e32 v14, v18, v20
	v_sub_f16_e32 v17, v23, v22
	v_add_f16_e32 v14, v14, v17
	v_add_f16_e32 v17, v20, v22
	v_fma_f16 v17, v17, -0.5, v34
	v_sub_f16_e32 v19, v9, v16
	v_fma_f16 v25, v19, s6, v17
	v_sub_f16_e32 v30, v11, v13
	v_fma_f16 v17, v19, s7, v17
	v_fma_f16 v25, v30, s4, v25
	;; [unrolled: 1-line block ×5, first 2 shown]
	v_sub_f16_e32 v17, v20, v18
	v_sub_f16_e32 v31, v22, v23
	v_add_f16_e32 v17, v17, v31
	v_add_f16_e32 v31, v18, v23
	v_fma_f16 v31, v31, -0.5, v34
	v_fma_f16 v32, v30, s7, v31
	v_fma_f16 v30, v30, s6, v31
	;; [unrolled: 1-line block ×6, first 2 shown]
	v_add_f16_e32 v19, v34, v18
	v_add_f16_e32 v19, v19, v20
	;; [unrolled: 1-line block ×4, first 2 shown]
	v_sub_f16_e32 v18, v18, v23
	v_sub_f16_e32 v20, v20, v22
	;; [unrolled: 1-line block ×4, first 2 shown]
	v_add_f16_e32 v22, v22, v23
	v_add_f16_e32 v23, v11, v13
	v_fma_f16 v23, v23, -0.5, v7
	v_fma_f16 v31, v18, s7, v23
	v_fma_f16 v23, v18, s6, v23
	;; [unrolled: 1-line block ×6, first 2 shown]
	v_add_f16_e32 v23, v9, v16
	v_fma_f16 v23, v23, -0.5, v7
	v_add_f16_e32 v7, v7, v9
	v_add_f16_e32 v7, v7, v11
	v_sub_f16_e32 v9, v11, v9
	v_sub_f16_e32 v11, v13, v16
	v_add_f16_e32 v9, v9, v11
	v_fma_f16 v11, v20, s6, v23
	v_add_f16_e32 v7, v7, v13
	v_fma_f16 v13, v20, s7, v23
	v_fma_f16 v11, v18, s5, v11
	;; [unrolled: 1-line block ×4, first 2 shown]
	v_mul_f16_e32 v20, 0xbb9c, v30
	v_fma_f16 v9, v9, s10, v13
	v_mul_f16_e32 v18, 0x3b9c, v11
	v_fma_f16 v11, v11, s10, v20
	v_mul_f16_e32 v20, 0x34f2, v17
	v_fma_f16 v20, v9, s6, -v20
	v_mul_f16_e32 v9, 0x34f2, v9
	v_mul_f16_e32 v13, 0x38b4, v31
	v_fma_f16 v9, v17, s7, -v9
	v_mul_f16_e32 v17, 0x3a79, v14
	v_add_f16_e32 v7, v7, v16
	v_fma_f16 v13, v25, s11, v13
	v_mul_f16_e32 v16, 0xb8b4, v25
	v_fma_f16 v17, v22, s4, -v17
	v_mul_f16_e32 v22, 0x3a79, v22
	v_fma_f16 v16, v31, s11, v16
	v_fma_f16 v18, v30, s10, v18
	v_fma_f16 v14, v14, s5, -v22
	v_add_f16_e32 v22, v15, v19
	v_sub_f16_e32 v15, v15, v19
	v_add_f16_e32 v19, v28, v13
	v_sub_f16_e32 v13, v28, v13
	;; [unrolled: 2-line block ×10, first 2 shown]
	s_waitcnt lgkmcnt(0)
	; wave barrier
	ds_write_b16 v1, v22
	ds_write_b16 v1, v19 offset:20
	ds_write_b16 v1, v23 offset:40
	;; [unrolled: 1-line block ×9, first 2 shown]
	s_waitcnt lgkmcnt(0)
	; wave barrier
	s_waitcnt lgkmcnt(0)
	ds_read_u16 v12, v6 offset:280
	ds_read_u16 v7, v4
	ds_read_u16 v8, v6 offset:40
	ds_read_u16 v9, v6 offset:80
	;; [unrolled: 1-line block ×8, first 2 shown]
	s_waitcnt lgkmcnt(0)
	; wave barrier
	s_waitcnt lgkmcnt(0)
	ds_write_b16 v1, v24
	ds_write_b16 v1, v29 offset:20
	ds_write_b16 v1, v30 offset:40
	;; [unrolled: 1-line block ×9, first 2 shown]
	s_waitcnt lgkmcnt(0)
	; wave barrier
	s_waitcnt lgkmcnt(0)
	s_and_saveexec_b64 s[0:1], vcc
	s_cbranch_execz .LBB0_12
; %bb.11:
	v_mov_b32_e32 v1, v5
	v_lshlrev_b64 v[17:18], 2, v[0:1]
	v_mov_b32_e32 v1, s9
	v_add_co_u32_e32 v19, vcc, s8, v17
	v_addc_co_u32_e32 v20, vcc, v1, v18, vcc
	global_load_dword v21, v[19:20], off offset:680
	global_load_dword v22, v[19:20], off offset:600
	;; [unrolled: 1-line block ×5, first 2 shown]
	ds_read_u16 v19, v6 offset:360
	ds_read_u16 v20, v6 offset:320
	;; [unrolled: 1-line block ×9, first 2 shown]
	ds_read_u16 v32, v4
	v_add_u32_e32 v4, 40, v0
	s_mov_b32 s0, 0x51eb851f
	v_mul_hi_u32 v4, v4, s0
	v_mov_b32_e32 v1, s3
	v_add_co_u32_e32 v2, vcc, s2, v2
	s_movk_i32 s1, 0x64
	v_addc_co_u32_e32 v3, vcc, v1, v3, vcc
	v_lshrrev_b32_e32 v1, 5, v4
	v_mul_lo_u32 v4, v1, s1
	v_add_co_u32_e32 v1, vcc, v2, v17
	v_addc_co_u32_e32 v2, vcc, v3, v18, vcc
	v_add_u32_e32 v33, 60, v0
	v_mul_hi_u32 v33, v33, s0
	v_lshlrev_b64 v[3:4], 2, v[4:5]
	v_add_u32_e32 v0, 0x50, v0
	v_mul_hi_u32 v0, v0, s0
	v_lshrrev_b32_e32 v0, 5, v0
	s_waitcnt vmcnt(4) lgkmcnt(9)
	v_mul_f16_sdwa v17, v19, v21 dst_sel:DWORD dst_unused:UNUSED_PAD src0_sel:DWORD src1_sel:WORD_1
	v_mul_f16_sdwa v18, v16, v21 dst_sel:DWORD dst_unused:UNUSED_PAD src0_sel:DWORD src1_sel:WORD_1
	s_waitcnt vmcnt(3)
	v_mul_f16_sdwa v35, v15, v22 dst_sel:DWORD dst_unused:UNUSED_PAD src0_sel:DWORD src1_sel:WORD_1
	s_waitcnt vmcnt(1) lgkmcnt(6)
	v_mul_f16_sdwa v38, v27, v24 dst_sel:DWORD dst_unused:UNUSED_PAD src0_sel:DWORD src1_sel:WORD_1
	v_mul_f16_sdwa v39, v14, v24 dst_sel:DWORD dst_unused:UNUSED_PAD src0_sel:DWORD src1_sel:WORD_1
	;; [unrolled: 1-line block ×3, first 2 shown]
	s_waitcnt vmcnt(0) lgkmcnt(5)
	v_mul_f16_sdwa v40, v28, v25 dst_sel:DWORD dst_unused:UNUSED_PAD src0_sel:DWORD src1_sel:WORD_1
	v_mul_f16_sdwa v41, v13, v25 dst_sel:DWORD dst_unused:UNUSED_PAD src0_sel:DWORD src1_sel:WORD_1
	v_fma_f16 v16, v16, v21, -v17
	v_fma_f16 v17, v21, v19, v18
	v_fma_f16 v18, v22, v20, v35
	v_fma_f16 v14, v14, v24, -v38
	v_fma_f16 v20, v24, v27, v39
	v_fma_f16 v13, v13, v25, -v40
	v_fma_f16 v21, v25, v28, v41
	v_sub_f16_e32 v14, v8, v14
	s_waitcnt lgkmcnt(1)
	v_sub_f16_e32 v20, v6, v20
	v_sub_f16_e32 v13, v7, v13
	s_waitcnt lgkmcnt(0)
	v_sub_f16_e32 v21, v32, v21
	v_fma_f16 v8, v8, 2.0, -v14
	v_fma_f16 v6, v6, 2.0, -v20
	;; [unrolled: 1-line block ×4, first 2 shown]
	v_pack_b32_f16 v13, v13, v21
	v_pack_b32_f16 v14, v14, v20
	;; [unrolled: 1-line block ×3, first 2 shown]
	v_mul_f16_sdwa v36, v26, v23 dst_sel:DWORD dst_unused:UNUSED_PAD src0_sel:DWORD src1_sel:WORD_1
	v_mul_f16_sdwa v37, v12, v23 dst_sel:DWORD dst_unused:UNUSED_PAD src0_sel:DWORD src1_sel:WORD_1
	v_pack_b32_f16 v7, v7, v25
	global_store_dword v[1:2], v13, off offset:400
	global_store_dword v[1:2], v14, off offset:480
	global_store_dword v[1:2], v7, off
	global_store_dword v[1:2], v6, off offset:80
	v_add_co_u32_e32 v6, vcc, v1, v3
	v_fma_f16 v12, v12, v23, -v36
	v_fma_f16 v19, v23, v26, v37
	v_addc_co_u32_e32 v7, vcc, v2, v4, vcc
	v_lshrrev_b32_e32 v4, 5, v33
	v_sub_f16_e32 v12, v9, v12
	v_sub_f16_e32 v19, v31, v19
	v_mul_lo_u32 v4, v4, s1
	v_fma_f16 v9, v9, 2.0, -v12
	v_fma_f16 v24, v31, 2.0, -v19
	v_pack_b32_f16 v3, v9, v24
	global_store_dword v[6:7], v3, off offset:160
	v_pack_b32_f16 v3, v12, v19
	global_store_dword v[6:7], v3, off offset:560
	v_lshlrev_b64 v[3:4], 2, v[4:5]
	v_fma_f16 v15, v15, v22, -v34
	v_add_co_u32_e32 v6, vcc, v1, v3
	v_addc_co_u32_e32 v7, vcc, v2, v4, vcc
	v_mul_lo_u32 v4, v0, s1
	v_sub_f16_e32 v15, v10, v15
	v_sub_f16_e32 v18, v30, v18
	v_fma_f16 v10, v10, 2.0, -v15
	v_fma_f16 v23, v30, 2.0, -v18
	v_pack_b32_f16 v3, v10, v23
	global_store_dword v[6:7], v3, off offset:240
	v_lshlrev_b64 v[3:4], 2, v[4:5]
	v_sub_f16_e32 v16, v11, v16
	v_sub_f16_e32 v17, v29, v17
	v_pack_b32_f16 v0, v15, v18
	v_fma_f16 v11, v11, 2.0, -v16
	v_fma_f16 v22, v29, 2.0, -v17
	global_store_dword v[6:7], v0, off offset:640
	v_add_co_u32_e32 v0, vcc, v1, v3
	v_addc_co_u32_e32 v1, vcc, v2, v4, vcc
	v_pack_b32_f16 v2, v11, v22
	global_store_dword v[0:1], v2, off offset:320
	v_pack_b32_f16 v2, v16, v17
	global_store_dword v[0:1], v2, off offset:720
.LBB0_12:
	s_endpgm
	.section	.rodata,"a",@progbits
	.p2align	6, 0x0
	.amdhsa_kernel fft_rtc_fwd_len200_factors_10_10_2_wgs_60_tpt_20_halfLds_half_ip_CI_unitstride_sbrr_dirReg
		.amdhsa_group_segment_fixed_size 0
		.amdhsa_private_segment_fixed_size 0
		.amdhsa_kernarg_size 88
		.amdhsa_user_sgpr_count 6
		.amdhsa_user_sgpr_private_segment_buffer 1
		.amdhsa_user_sgpr_dispatch_ptr 0
		.amdhsa_user_sgpr_queue_ptr 0
		.amdhsa_user_sgpr_kernarg_segment_ptr 1
		.amdhsa_user_sgpr_dispatch_id 0
		.amdhsa_user_sgpr_flat_scratch_init 0
		.amdhsa_user_sgpr_private_segment_size 0
		.amdhsa_uses_dynamic_stack 0
		.amdhsa_system_sgpr_private_segment_wavefront_offset 0
		.amdhsa_system_sgpr_workgroup_id_x 1
		.amdhsa_system_sgpr_workgroup_id_y 0
		.amdhsa_system_sgpr_workgroup_id_z 0
		.amdhsa_system_sgpr_workgroup_info 0
		.amdhsa_system_vgpr_workitem_id 0
		.amdhsa_next_free_vgpr 50
		.amdhsa_next_free_sgpr 22
		.amdhsa_reserve_vcc 1
		.amdhsa_reserve_flat_scratch 0
		.amdhsa_float_round_mode_32 0
		.amdhsa_float_round_mode_16_64 0
		.amdhsa_float_denorm_mode_32 3
		.amdhsa_float_denorm_mode_16_64 3
		.amdhsa_dx10_clamp 1
		.amdhsa_ieee_mode 1
		.amdhsa_fp16_overflow 0
		.amdhsa_exception_fp_ieee_invalid_op 0
		.amdhsa_exception_fp_denorm_src 0
		.amdhsa_exception_fp_ieee_div_zero 0
		.amdhsa_exception_fp_ieee_overflow 0
		.amdhsa_exception_fp_ieee_underflow 0
		.amdhsa_exception_fp_ieee_inexact 0
		.amdhsa_exception_int_div_zero 0
	.end_amdhsa_kernel
	.text
.Lfunc_end0:
	.size	fft_rtc_fwd_len200_factors_10_10_2_wgs_60_tpt_20_halfLds_half_ip_CI_unitstride_sbrr_dirReg, .Lfunc_end0-fft_rtc_fwd_len200_factors_10_10_2_wgs_60_tpt_20_halfLds_half_ip_CI_unitstride_sbrr_dirReg
                                        ; -- End function
	.section	.AMDGPU.csdata,"",@progbits
; Kernel info:
; codeLenInByte = 5036
; NumSgprs: 26
; NumVgprs: 50
; ScratchSize: 0
; MemoryBound: 0
; FloatMode: 240
; IeeeMode: 1
; LDSByteSize: 0 bytes/workgroup (compile time only)
; SGPRBlocks: 3
; VGPRBlocks: 12
; NumSGPRsForWavesPerEU: 26
; NumVGPRsForWavesPerEU: 50
; Occupancy: 4
; WaveLimiterHint : 1
; COMPUTE_PGM_RSRC2:SCRATCH_EN: 0
; COMPUTE_PGM_RSRC2:USER_SGPR: 6
; COMPUTE_PGM_RSRC2:TRAP_HANDLER: 0
; COMPUTE_PGM_RSRC2:TGID_X_EN: 1
; COMPUTE_PGM_RSRC2:TGID_Y_EN: 0
; COMPUTE_PGM_RSRC2:TGID_Z_EN: 0
; COMPUTE_PGM_RSRC2:TIDIG_COMP_CNT: 0
	.type	__hip_cuid_8eaa0f18ae8d1ba6,@object ; @__hip_cuid_8eaa0f18ae8d1ba6
	.section	.bss,"aw",@nobits
	.globl	__hip_cuid_8eaa0f18ae8d1ba6
__hip_cuid_8eaa0f18ae8d1ba6:
	.byte	0                               ; 0x0
	.size	__hip_cuid_8eaa0f18ae8d1ba6, 1

	.ident	"AMD clang version 19.0.0git (https://github.com/RadeonOpenCompute/llvm-project roc-6.4.0 25133 c7fe45cf4b819c5991fe208aaa96edf142730f1d)"
	.section	".note.GNU-stack","",@progbits
	.addrsig
	.addrsig_sym __hip_cuid_8eaa0f18ae8d1ba6
	.amdgpu_metadata
---
amdhsa.kernels:
  - .args:
      - .actual_access:  read_only
        .address_space:  global
        .offset:         0
        .size:           8
        .value_kind:     global_buffer
      - .offset:         8
        .size:           8
        .value_kind:     by_value
      - .actual_access:  read_only
        .address_space:  global
        .offset:         16
        .size:           8
        .value_kind:     global_buffer
      - .actual_access:  read_only
        .address_space:  global
        .offset:         24
        .size:           8
        .value_kind:     global_buffer
      - .offset:         32
        .size:           8
        .value_kind:     by_value
      - .actual_access:  read_only
        .address_space:  global
        .offset:         40
        .size:           8
        .value_kind:     global_buffer
      - .actual_access:  read_only
        .address_space:  global
        .offset:         48
        .size:           8
        .value_kind:     global_buffer
      - .offset:         56
        .size:           4
        .value_kind:     by_value
      - .actual_access:  read_only
        .address_space:  global
        .offset:         64
        .size:           8
        .value_kind:     global_buffer
      - .actual_access:  read_only
        .address_space:  global
        .offset:         72
        .size:           8
        .value_kind:     global_buffer
      - .address_space:  global
        .offset:         80
        .size:           8
        .value_kind:     global_buffer
    .group_segment_fixed_size: 0
    .kernarg_segment_align: 8
    .kernarg_segment_size: 88
    .language:       OpenCL C
    .language_version:
      - 2
      - 0
    .max_flat_workgroup_size: 60
    .name:           fft_rtc_fwd_len200_factors_10_10_2_wgs_60_tpt_20_halfLds_half_ip_CI_unitstride_sbrr_dirReg
    .private_segment_fixed_size: 0
    .sgpr_count:     26
    .sgpr_spill_count: 0
    .symbol:         fft_rtc_fwd_len200_factors_10_10_2_wgs_60_tpt_20_halfLds_half_ip_CI_unitstride_sbrr_dirReg.kd
    .uniform_work_group_size: 1
    .uses_dynamic_stack: false
    .vgpr_count:     50
    .vgpr_spill_count: 0
    .wavefront_size: 64
amdhsa.target:   amdgcn-amd-amdhsa--gfx906
amdhsa.version:
  - 1
  - 2
...

	.end_amdgpu_metadata
